;; amdgpu-corpus repo=ROCm/rocFFT kind=compiled arch=gfx906 opt=O3
	.text
	.amdgcn_target "amdgcn-amd-amdhsa--gfx906"
	.amdhsa_code_object_version 6
	.protected	fft_rtc_back_len980_factors_7_5_7_4_wgs_196_tpt_196_dp_op_CI_CI_unitstride_sbrr_C2R_dirReg ; -- Begin function fft_rtc_back_len980_factors_7_5_7_4_wgs_196_tpt_196_dp_op_CI_CI_unitstride_sbrr_C2R_dirReg
	.globl	fft_rtc_back_len980_factors_7_5_7_4_wgs_196_tpt_196_dp_op_CI_CI_unitstride_sbrr_C2R_dirReg
	.p2align	8
	.type	fft_rtc_back_len980_factors_7_5_7_4_wgs_196_tpt_196_dp_op_CI_CI_unitstride_sbrr_C2R_dirReg,@function
fft_rtc_back_len980_factors_7_5_7_4_wgs_196_tpt_196_dp_op_CI_CI_unitstride_sbrr_C2R_dirReg: ; @fft_rtc_back_len980_factors_7_5_7_4_wgs_196_tpt_196_dp_op_CI_CI_unitstride_sbrr_C2R_dirReg
; %bb.0:
	s_load_dwordx4 s[8:11], s[4:5], 0x58
	s_load_dwordx4 s[12:15], s[4:5], 0x0
	;; [unrolled: 1-line block ×3, first 2 shown]
	v_mul_u32_u24_e32 v1, 0x14f, v0
	v_add_u32_sdwa v5, s6, v1 dst_sel:DWORD dst_unused:UNUSED_PAD src0_sel:DWORD src1_sel:WORD_1
	v_mov_b32_e32 v3, 0
	s_waitcnt lgkmcnt(0)
	v_cmp_lt_u64_e64 s[0:1], s[14:15], 2
	v_mov_b32_e32 v1, 0
	v_mov_b32_e32 v6, v3
	s_and_b64 vcc, exec, s[0:1]
	v_mov_b32_e32 v2, 0
	s_cbranch_vccnz .LBB0_8
; %bb.1:
	s_load_dwordx2 s[0:1], s[4:5], 0x10
	s_add_u32 s2, s18, 8
	s_addc_u32 s3, s19, 0
	s_add_u32 s6, s16, 8
	v_mov_b32_e32 v1, 0
	s_addc_u32 s7, s17, 0
	v_mov_b32_e32 v2, 0
	s_waitcnt lgkmcnt(0)
	s_add_u32 s20, s0, 8
	v_mov_b32_e32 v33, v2
	s_addc_u32 s21, s1, 0
	s_mov_b64 s[22:23], 1
	v_mov_b32_e32 v32, v1
.LBB0_2:                                ; =>This Inner Loop Header: Depth=1
	s_load_dwordx2 s[24:25], s[20:21], 0x0
                                        ; implicit-def: $vgpr34_vgpr35
	s_waitcnt lgkmcnt(0)
	v_or_b32_e32 v4, s25, v6
	v_cmp_ne_u64_e32 vcc, 0, v[3:4]
	s_and_saveexec_b64 s[0:1], vcc
	s_xor_b64 s[26:27], exec, s[0:1]
	s_cbranch_execz .LBB0_4
; %bb.3:                                ;   in Loop: Header=BB0_2 Depth=1
	v_cvt_f32_u32_e32 v4, s24
	v_cvt_f32_u32_e32 v7, s25
	s_sub_u32 s0, 0, s24
	s_subb_u32 s1, 0, s25
	v_mac_f32_e32 v4, 0x4f800000, v7
	v_rcp_f32_e32 v4, v4
	v_mul_f32_e32 v4, 0x5f7ffffc, v4
	v_mul_f32_e32 v7, 0x2f800000, v4
	v_trunc_f32_e32 v7, v7
	v_mac_f32_e32 v4, 0xcf800000, v7
	v_cvt_u32_f32_e32 v7, v7
	v_cvt_u32_f32_e32 v4, v4
	v_mul_lo_u32 v8, s0, v7
	v_mul_hi_u32 v9, s0, v4
	v_mul_lo_u32 v11, s1, v4
	v_mul_lo_u32 v10, s0, v4
	v_add_u32_e32 v8, v9, v8
	v_add_u32_e32 v8, v8, v11
	v_mul_hi_u32 v9, v4, v10
	v_mul_lo_u32 v11, v4, v8
	v_mul_hi_u32 v13, v4, v8
	v_mul_hi_u32 v12, v7, v10
	v_mul_lo_u32 v10, v7, v10
	v_mul_hi_u32 v14, v7, v8
	v_add_co_u32_e32 v9, vcc, v9, v11
	v_addc_co_u32_e32 v11, vcc, 0, v13, vcc
	v_mul_lo_u32 v8, v7, v8
	v_add_co_u32_e32 v9, vcc, v9, v10
	v_addc_co_u32_e32 v9, vcc, v11, v12, vcc
	v_addc_co_u32_e32 v10, vcc, 0, v14, vcc
	v_add_co_u32_e32 v8, vcc, v9, v8
	v_addc_co_u32_e32 v9, vcc, 0, v10, vcc
	v_add_co_u32_e32 v4, vcc, v4, v8
	v_addc_co_u32_e32 v7, vcc, v7, v9, vcc
	v_mul_lo_u32 v8, s0, v7
	v_mul_hi_u32 v9, s0, v4
	v_mul_lo_u32 v10, s1, v4
	v_mul_lo_u32 v11, s0, v4
	v_add_u32_e32 v8, v9, v8
	v_add_u32_e32 v8, v8, v10
	v_mul_lo_u32 v12, v4, v8
	v_mul_hi_u32 v13, v4, v11
	v_mul_hi_u32 v14, v4, v8
	v_mul_hi_u32 v10, v7, v11
	v_mul_lo_u32 v11, v7, v11
	v_mul_hi_u32 v9, v7, v8
	v_add_co_u32_e32 v12, vcc, v13, v12
	v_addc_co_u32_e32 v13, vcc, 0, v14, vcc
	v_mul_lo_u32 v8, v7, v8
	v_add_co_u32_e32 v11, vcc, v12, v11
	v_addc_co_u32_e32 v10, vcc, v13, v10, vcc
	v_addc_co_u32_e32 v9, vcc, 0, v9, vcc
	v_add_co_u32_e32 v8, vcc, v10, v8
	v_addc_co_u32_e32 v9, vcc, 0, v9, vcc
	v_add_co_u32_e32 v4, vcc, v4, v8
	v_addc_co_u32_e32 v9, vcc, v7, v9, vcc
	v_mad_u64_u32 v[7:8], s[0:1], v5, v9, 0
	v_mul_hi_u32 v10, v5, v4
	v_add_co_u32_e32 v11, vcc, v10, v7
	v_addc_co_u32_e32 v12, vcc, 0, v8, vcc
	v_mad_u64_u32 v[7:8], s[0:1], v6, v4, 0
	v_mad_u64_u32 v[9:10], s[0:1], v6, v9, 0
	v_add_co_u32_e32 v4, vcc, v11, v7
	v_addc_co_u32_e32 v4, vcc, v12, v8, vcc
	v_addc_co_u32_e32 v7, vcc, 0, v10, vcc
	v_add_co_u32_e32 v4, vcc, v4, v9
	v_addc_co_u32_e32 v9, vcc, 0, v7, vcc
	v_mul_lo_u32 v10, s25, v4
	v_mul_lo_u32 v11, s24, v9
	v_mad_u64_u32 v[7:8], s[0:1], s24, v4, 0
	v_add3_u32 v8, v8, v11, v10
	v_sub_u32_e32 v10, v6, v8
	v_mov_b32_e32 v11, s25
	v_sub_co_u32_e32 v7, vcc, v5, v7
	v_subb_co_u32_e64 v10, s[0:1], v10, v11, vcc
	v_subrev_co_u32_e64 v11, s[0:1], s24, v7
	v_subbrev_co_u32_e64 v10, s[0:1], 0, v10, s[0:1]
	v_cmp_le_u32_e64 s[0:1], s25, v10
	v_cndmask_b32_e64 v12, 0, -1, s[0:1]
	v_cmp_le_u32_e64 s[0:1], s24, v11
	v_cndmask_b32_e64 v11, 0, -1, s[0:1]
	v_cmp_eq_u32_e64 s[0:1], s25, v10
	v_cndmask_b32_e64 v10, v12, v11, s[0:1]
	v_add_co_u32_e64 v11, s[0:1], 2, v4
	v_addc_co_u32_e64 v12, s[0:1], 0, v9, s[0:1]
	v_add_co_u32_e64 v13, s[0:1], 1, v4
	v_addc_co_u32_e64 v14, s[0:1], 0, v9, s[0:1]
	v_subb_co_u32_e32 v8, vcc, v6, v8, vcc
	v_cmp_ne_u32_e64 s[0:1], 0, v10
	v_cmp_le_u32_e32 vcc, s25, v8
	v_cndmask_b32_e64 v10, v14, v12, s[0:1]
	v_cndmask_b32_e64 v12, 0, -1, vcc
	v_cmp_le_u32_e32 vcc, s24, v7
	v_cndmask_b32_e64 v7, 0, -1, vcc
	v_cmp_eq_u32_e32 vcc, s25, v8
	v_cndmask_b32_e32 v7, v12, v7, vcc
	v_cmp_ne_u32_e32 vcc, 0, v7
	v_cndmask_b32_e64 v7, v13, v11, s[0:1]
	v_cndmask_b32_e32 v35, v9, v10, vcc
	v_cndmask_b32_e32 v34, v4, v7, vcc
.LBB0_4:                                ;   in Loop: Header=BB0_2 Depth=1
	s_andn2_saveexec_b64 s[0:1], s[26:27]
	s_cbranch_execz .LBB0_6
; %bb.5:                                ;   in Loop: Header=BB0_2 Depth=1
	v_cvt_f32_u32_e32 v4, s24
	s_sub_i32 s26, 0, s24
	v_mov_b32_e32 v35, v3
	v_rcp_iflag_f32_e32 v4, v4
	v_mul_f32_e32 v4, 0x4f7ffffe, v4
	v_cvt_u32_f32_e32 v4, v4
	v_mul_lo_u32 v7, s26, v4
	v_mul_hi_u32 v7, v4, v7
	v_add_u32_e32 v4, v4, v7
	v_mul_hi_u32 v4, v5, v4
	v_mul_lo_u32 v7, v4, s24
	v_add_u32_e32 v8, 1, v4
	v_sub_u32_e32 v7, v5, v7
	v_subrev_u32_e32 v9, s24, v7
	v_cmp_le_u32_e32 vcc, s24, v7
	v_cndmask_b32_e32 v7, v7, v9, vcc
	v_cndmask_b32_e32 v4, v4, v8, vcc
	v_add_u32_e32 v8, 1, v4
	v_cmp_le_u32_e32 vcc, s24, v7
	v_cndmask_b32_e32 v34, v4, v8, vcc
.LBB0_6:                                ;   in Loop: Header=BB0_2 Depth=1
	s_or_b64 exec, exec, s[0:1]
	v_mul_lo_u32 v4, v35, s24
	v_mul_lo_u32 v9, v34, s25
	v_mad_u64_u32 v[7:8], s[0:1], v34, s24, 0
	s_load_dwordx2 s[0:1], s[6:7], 0x0
	s_load_dwordx2 s[24:25], s[2:3], 0x0
	v_add3_u32 v4, v8, v9, v4
	v_sub_co_u32_e32 v5, vcc, v5, v7
	v_subb_co_u32_e32 v4, vcc, v6, v4, vcc
	s_waitcnt lgkmcnt(0)
	v_mul_lo_u32 v6, s0, v4
	v_mul_lo_u32 v7, s1, v5
	v_mad_u64_u32 v[1:2], s[0:1], s0, v5, v[1:2]
	v_mul_lo_u32 v4, s24, v4
	v_mul_lo_u32 v8, s25, v5
	v_mad_u64_u32 v[32:33], s[0:1], s24, v5, v[32:33]
	s_add_u32 s22, s22, 1
	s_addc_u32 s23, s23, 0
	s_add_u32 s2, s2, 8
	v_add3_u32 v33, v8, v33, v4
	s_addc_u32 s3, s3, 0
	v_mov_b32_e32 v4, s14
	s_add_u32 s6, s6, 8
	v_mov_b32_e32 v5, s15
	s_addc_u32 s7, s7, 0
	v_cmp_ge_u64_e32 vcc, s[22:23], v[4:5]
	s_add_u32 s20, s20, 8
	v_add3_u32 v2, v7, v2, v6
	s_addc_u32 s21, s21, 0
	s_cbranch_vccnz .LBB0_9
; %bb.7:                                ;   in Loop: Header=BB0_2 Depth=1
	v_mov_b32_e32 v5, v34
	v_mov_b32_e32 v6, v35
	s_branch .LBB0_2
.LBB0_8:
	v_mov_b32_e32 v33, v2
	v_mov_b32_e32 v35, v6
	;; [unrolled: 1-line block ×4, first 2 shown]
.LBB0_9:
	s_load_dwordx2 s[4:5], s[4:5], 0x28
	s_lshl_b64 s[6:7], s[14:15], 3
	s_add_u32 s2, s18, s6
	s_addc_u32 s3, s19, s7
                                        ; implicit-def: $vgpr36
	s_waitcnt lgkmcnt(0)
	v_cmp_gt_u64_e64 s[0:1], s[4:5], v[34:35]
	v_cmp_le_u64_e32 vcc, s[4:5], v[34:35]
	s_and_saveexec_b64 s[4:5], vcc
	s_xor_b64 s[4:5], exec, s[4:5]
; %bb.10:
	s_mov_b32 s14, 0x14e5e0b
	v_mul_hi_u32 v1, v0, s14
	v_mul_u32_u24_e32 v1, 0xc4, v1
	v_sub_u32_e32 v36, v0, v1
                                        ; implicit-def: $vgpr0
                                        ; implicit-def: $vgpr1_vgpr2
; %bb.11:
	s_or_saveexec_b64 s[4:5], s[4:5]
	s_load_dwordx2 s[2:3], s[2:3], 0x0
	s_xor_b64 exec, exec, s[4:5]
	s_cbranch_execz .LBB0_15
; %bb.12:
	s_add_u32 s6, s16, s6
	s_addc_u32 s7, s17, s7
	s_load_dwordx2 s[6:7], s[6:7], 0x0
	s_mov_b32 s14, 0x14e5e0b
	v_mul_hi_u32 v5, v0, s14
	v_lshlrev_b64 v[1:2], 4, v[1:2]
	s_waitcnt lgkmcnt(0)
	v_mul_lo_u32 v6, s7, v34
	v_mul_lo_u32 v7, s6, v35
	v_mad_u64_u32 v[3:4], s[6:7], s6, v34, 0
	v_mul_u32_u24_e32 v5, 0xc4, v5
	v_sub_u32_e32 v36, v0, v5
	v_add3_u32 v4, v4, v7, v6
	v_lshlrev_b64 v[3:4], 4, v[3:4]
	v_mov_b32_e32 v0, s9
	v_add_co_u32_e32 v3, vcc, s8, v3
	v_addc_co_u32_e32 v0, vcc, v0, v4, vcc
	v_add_co_u32_e32 v1, vcc, v3, v1
	v_addc_co_u32_e32 v0, vcc, v0, v2, vcc
	v_lshlrev_b32_e32 v25, 4, v36
	v_add_co_u32_e32 v17, vcc, v1, v25
	v_addc_co_u32_e32 v18, vcc, 0, v0, vcc
	s_movk_i32 s6, 0x1000
	v_add_co_u32_e32 v19, vcc, s6, v17
	v_addc_co_u32_e32 v20, vcc, 0, v18, vcc
	v_add_co_u32_e32 v21, vcc, 0x2000, v17
	v_addc_co_u32_e32 v22, vcc, 0, v18, vcc
	global_load_dwordx4 v[2:5], v[17:18], off
	global_load_dwordx4 v[6:9], v[17:18], off offset:3136
	v_add_co_u32_e32 v23, vcc, 0x3000, v17
	global_load_dwordx4 v[10:13], v[19:20], off offset:2176
	global_load_dwordx4 v[14:17], v[21:22], off offset:1216
	v_addc_co_u32_e32 v24, vcc, 0, v18, vcc
	global_load_dwordx4 v[18:21], v[23:24], off offset:256
	s_movk_i32 s6, 0xc3
	v_add_u32_e32 v22, 0, v25
	v_cmp_eq_u32_e32 vcc, s6, v36
	s_waitcnt vmcnt(4)
	ds_write_b128 v22, v[2:5]
	s_waitcnt vmcnt(3)
	ds_write_b128 v22, v[6:9] offset:3136
	s_waitcnt vmcnt(2)
	ds_write_b128 v22, v[10:13] offset:6272
	;; [unrolled: 2-line block ×4, first 2 shown]
	s_and_saveexec_b64 s[6:7], vcc
	s_cbranch_execz .LBB0_14
; %bb.13:
	v_add_co_u32_e32 v1, vcc, 0x3000, v1
	v_addc_co_u32_e32 v2, vcc, 0, v0, vcc
	global_load_dwordx4 v[0:3], v[1:2], off offset:3392
	v_mov_b32_e32 v4, 0
	v_mov_b32_e32 v36, 0xc3
	s_waitcnt vmcnt(0)
	ds_write_b128 v4, v[0:3] offset:15680
.LBB0_14:
	s_or_b64 exec, exec, s[6:7]
.LBB0_15:
	s_or_b64 exec, exec, s[4:5]
	v_lshlrev_b32_e32 v0, 4, v36
	v_add_u32_e32 v57, 0, v0
	s_waitcnt lgkmcnt(0)
	s_barrier
	v_sub_u32_e32 v10, 0, v0
	ds_read_b64 v[6:7], v57
	ds_read_b64 v[8:9], v10 offset:15680
	s_add_u32 s6, s12, 0x3cd0
	s_addc_u32 s7, s13, 0
	v_cmp_ne_u32_e32 vcc, 0, v36
                                        ; implicit-def: $vgpr4_vgpr5
	s_waitcnt lgkmcnt(0)
	v_add_f64 v[0:1], v[6:7], v[8:9]
	v_add_f64 v[2:3], v[6:7], -v[8:9]
	s_and_saveexec_b64 s[4:5], vcc
	s_xor_b64 s[4:5], exec, s[4:5]
	s_cbranch_execz .LBB0_17
; %bb.16:
	v_mov_b32_e32 v37, 0
	v_lshlrev_b64 v[0:1], 4, v[36:37]
	v_mov_b32_e32 v2, s7
	v_add_co_u32_e32 v0, vcc, s6, v0
	v_addc_co_u32_e32 v1, vcc, v2, v1, vcc
	global_load_dwordx4 v[2:5], v[0:1], off
	ds_read_b64 v[0:1], v10 offset:15688
	ds_read_b64 v[11:12], v57 offset:8
	v_add_f64 v[13:14], v[6:7], v[8:9]
	v_add_f64 v[8:9], v[6:7], -v[8:9]
	s_waitcnt lgkmcnt(0)
	v_add_f64 v[15:16], v[0:1], v[11:12]
	v_add_f64 v[0:1], v[11:12], -v[0:1]
	s_waitcnt vmcnt(0)
	v_fma_f64 v[6:7], -v[8:9], v[4:5], v[13:14]
	v_fma_f64 v[11:12], v[15:16], v[4:5], -v[0:1]
	v_fma_f64 v[13:14], v[8:9], v[4:5], v[13:14]
	v_fma_f64 v[17:18], v[15:16], v[4:5], v[0:1]
	;; [unrolled: 1-line block ×4, first 2 shown]
	v_fma_f64 v[0:1], -v[15:16], v[2:3], v[13:14]
	v_fma_f64 v[2:3], v[8:9], v[2:3], v[17:18]
	ds_write_b128 v10, v[4:7] offset:15680
	v_mov_b32_e32 v4, v36
	v_mov_b32_e32 v5, v37
.LBB0_17:
	s_andn2_saveexec_b64 s[4:5], s[4:5]
	s_cbranch_execz .LBB0_19
; %bb.18:
	v_mov_b32_e32 v8, 0
	ds_read_b128 v[4:7], v8 offset:7840
	s_waitcnt lgkmcnt(0)
	v_add_f64 v[11:12], v[4:5], v[4:5]
	v_mul_f64 v[13:14], v[6:7], -2.0
	v_mov_b32_e32 v4, 0
	v_mov_b32_e32 v5, 0
	ds_write_b128 v8, v[11:14] offset:7840
.LBB0_19:
	s_or_b64 exec, exec, s[4:5]
	v_lshlrev_b64 v[4:5], 4, v[4:5]
	v_mov_b32_e32 v6, s7
	v_add_co_u32_e32 v4, vcc, s6, v4
	v_addc_co_u32_e32 v5, vcc, v6, v5, vcc
	global_load_dwordx4 v[6:9], v[4:5], off offset:3136
	ds_write_b128 v57, v[0:3]
	ds_read_b128 v[0:3], v57 offset:3136
	ds_read_b128 v[11:14], v10 offset:12544
	s_movk_i32 s4, 0x62
	v_cmp_gt_u32_e32 vcc, s4, v36
	s_waitcnt lgkmcnt(0)
	v_add_f64 v[15:16], v[0:1], v[11:12]
	v_add_f64 v[17:18], v[13:14], v[2:3]
	v_add_f64 v[19:20], v[0:1], -v[11:12]
	v_add_f64 v[0:1], v[2:3], -v[13:14]
	s_waitcnt vmcnt(0)
	v_fma_f64 v[2:3], v[19:20], v[8:9], v[15:16]
	v_fma_f64 v[11:12], v[17:18], v[8:9], v[0:1]
	v_fma_f64 v[13:14], -v[19:20], v[8:9], v[15:16]
	v_fma_f64 v[8:9], v[17:18], v[8:9], -v[0:1]
	v_fma_f64 v[0:1], -v[17:18], v[6:7], v[2:3]
	v_fma_f64 v[2:3], v[19:20], v[6:7], v[11:12]
	v_fma_f64 v[11:12], v[17:18], v[6:7], v[13:14]
	;; [unrolled: 1-line block ×3, first 2 shown]
	ds_write_b128 v57, v[0:3] offset:3136
	ds_write_b128 v10, v[11:14] offset:12544
	s_and_saveexec_b64 s[4:5], vcc
	s_cbranch_execz .LBB0_21
; %bb.20:
	s_movk_i32 s6, 0x1000
	v_add_co_u32_e32 v0, vcc, s6, v4
	v_addc_co_u32_e32 v1, vcc, 0, v5, vcc
	global_load_dwordx4 v[0:3], v[0:1], off offset:2176
	ds_read_b128 v[4:7], v57 offset:6272
	ds_read_b128 v[11:14], v10 offset:9408
	s_waitcnt lgkmcnt(0)
	v_add_f64 v[8:9], v[4:5], v[11:12]
	v_add_f64 v[15:16], v[13:14], v[6:7]
	v_add_f64 v[11:12], v[4:5], -v[11:12]
	v_add_f64 v[4:5], v[6:7], -v[13:14]
	s_waitcnt vmcnt(0)
	v_fma_f64 v[6:7], v[11:12], v[2:3], v[8:9]
	v_fma_f64 v[13:14], v[15:16], v[2:3], v[4:5]
	v_fma_f64 v[8:9], -v[11:12], v[2:3], v[8:9]
	v_fma_f64 v[17:18], v[15:16], v[2:3], -v[4:5]
	v_fma_f64 v[2:3], -v[15:16], v[0:1], v[6:7]
	v_fma_f64 v[4:5], v[11:12], v[0:1], v[13:14]
	v_fma_f64 v[6:7], v[15:16], v[0:1], v[8:9]
	;; [unrolled: 1-line block ×3, first 2 shown]
	ds_write_b128 v57, v[2:5] offset:6272
	ds_write_b128 v10, v[6:9] offset:9408
.LBB0_21:
	s_or_b64 exec, exec, s[4:5]
	s_waitcnt lgkmcnt(0)
	s_barrier
	s_barrier
	ds_read_b128 v[0:3], v57 offset:13440
	ds_read_b128 v[4:7], v57 offset:2240
	ds_read_b128 v[8:11], v57 offset:11200
	ds_read_b128 v[12:15], v57
	ds_read_b128 v[16:19], v57 offset:4480
	ds_read_b128 v[20:23], v57 offset:6720
	;; [unrolled: 1-line block ×3, first 2 shown]
	s_waitcnt lgkmcnt(5)
	v_add_f64 v[28:29], v[4:5], v[0:1]
	v_add_f64 v[30:31], v[6:7], v[2:3]
	v_add_f64 v[0:1], v[4:5], -v[0:1]
	s_waitcnt lgkmcnt(2)
	v_add_f64 v[37:38], v[16:17], v[8:9]
	v_add_f64 v[39:40], v[18:19], v[10:11]
	s_waitcnt lgkmcnt(0)
	v_add_f64 v[41:42], v[20:21], v[24:25]
	v_add_f64 v[43:44], v[22:23], v[26:27]
	v_add_f64 v[2:3], v[6:7], -v[2:3]
	v_add_f64 v[4:5], v[16:17], -v[8:9]
	v_add_f64 v[6:7], v[24:25], -v[20:21]
	v_add_f64 v[24:25], v[18:19], -v[10:11]
	v_add_f64 v[45:46], v[37:38], v[28:29]
	v_add_f64 v[47:48], v[39:40], v[30:31]
	v_add_f64 v[22:23], v[26:27], -v[22:23]
	v_add_f64 v[26:27], v[28:29], -v[41:42]
	v_add_f64 v[16:17], v[39:40], -v[30:31]
	v_add_f64 v[18:19], v[43:44], -v[39:40]
	v_add_f64 v[20:21], v[6:7], v[4:5]
	s_mov_b32 s4, 0x37e14327
	v_add_f64 v[45:46], v[41:42], v[45:46]
	v_add_f64 v[47:48], v[43:44], v[47:48]
	s_mov_b32 s5, 0x3fe948f6
	v_add_f64 v[39:40], v[2:3], -v[22:23]
	s_mov_b32 s6, 0x36b3c0b5
	s_mov_b32 s7, 0x3fac98ee
	v_add_f64 v[20:21], v[20:21], v[0:1]
	s_mov_b32 s8, 0x5476071b
	v_add_f64 v[8:9], v[12:13], v[45:46]
	v_add_f64 v[12:13], v[37:38], -v[28:29]
	v_add_f64 v[28:29], v[30:31], -v[43:44]
	v_add_f64 v[30:31], v[22:23], v[24:25]
	v_add_f64 v[10:11], v[14:15], v[47:48]
	v_add_f64 v[14:15], v[41:42], -v[37:38]
	v_add_f64 v[37:38], v[6:7], -v[4:5]
	;; [unrolled: 1-line block ×6, first 2 shown]
	v_add_f64 v[22:23], v[30:31], v[2:3]
	v_mul_f64 v[2:3], v[26:27], s[4:5]
	v_mul_f64 v[49:50], v[28:29], s[4:5]
	s_mov_b32 s4, 0xe976ee23
	s_mov_b32 s5, 0x3fe11646
	v_mul_f64 v[26:27], v[37:38], s[4:5]
	v_mul_f64 v[24:25], v[0:1], s[4:5]
	s_mov_b32 s4, 0x429ad128
	s_mov_b32 s5, 0xbfebfeb5
	;; [unrolled: 4-line block ×3, first 2 shown]
	v_fma_f64 v[30:31], v[45:46], s[4:5], v[8:9]
	v_fma_f64 v[37:38], v[47:48], s[4:5], v[10:11]
	s_mov_b32 s5, 0xbfd5d0dc
	s_mov_b32 s4, 0xb247c609
	;; [unrolled: 1-line block ×3, first 2 shown]
	v_fma_f64 v[51:52], v[6:7], s[4:5], v[26:27]
	v_fma_f64 v[58:59], v[39:40], s[4:5], v[24:25]
	s_mov_b32 s5, 0x3fd5d0dc
	v_fma_f64 v[0:1], v[14:15], s[6:7], v[2:3]
	v_fma_f64 v[2:3], v[12:13], s[8:9], -v[2:3]
	v_fma_f64 v[4:5], v[18:19], s[6:7], v[49:50]
	v_fma_f64 v[47:48], v[16:17], s[8:9], -v[49:50]
	v_fma_f64 v[53:54], v[39:40], s[4:5], -v[28:29]
	;; [unrolled: 1-line block ×3, first 2 shown]
	s_mov_b32 s14, 0x37c3f68c
	s_mov_b32 s15, 0xbfdc38aa
	v_add_f64 v[39:40], v[0:1], v[30:31]
	v_add_f64 v[45:46], v[2:3], v[30:31]
	;; [unrolled: 1-line block ×4, first 2 shown]
	v_fma_f64 v[53:54], v[22:23], s[14:15], v[53:54]
	v_fma_f64 v[55:56], v[20:21], s[14:15], v[6:7]
	;; [unrolled: 1-line block ×4, first 2 shown]
	s_movk_i32 s4, 0x8c
	v_cmp_gt_u32_e32 vcc, s4, v36
	s_barrier
	v_add_f64 v[0:1], v[45:46], -v[53:54]
	v_add_f64 v[2:3], v[55:56], v[49:50]
	v_add_f64 v[4:5], v[39:40], -v[47:48]
	v_add_f64 v[6:7], v[51:52], v[43:44]
	s_and_saveexec_b64 s[4:5], vcc
	s_cbranch_execz .LBB0_23
; %bb.22:
	s_mov_b32 s9, 0x3fe77f67
	v_mul_f64 v[18:19], v[18:19], s[6:7]
	v_mul_f64 v[16:17], v[16:17], s[8:9]
	;; [unrolled: 1-line block ×6, first 2 shown]
	v_add_f64 v[26:27], v[41:42], -v[26:27]
	s_movk_i32 s6, 0x60
	v_add_f64 v[16:17], v[16:17], -v[18:19]
	v_add_f64 v[18:19], v[28:29], -v[24:25]
	;; [unrolled: 1-line block ×4, first 2 shown]
	v_add_f64 v[20:21], v[20:21], v[26:27]
	v_add_f64 v[24:25], v[16:17], v[37:38]
	;; [unrolled: 1-line block ×4, first 2 shown]
	v_add_f64 v[18:19], v[43:44], -v[51:52]
	v_add_f64 v[16:17], v[39:40], v[47:48]
	v_add_f64 v[12:13], v[45:46], v[53:54]
	v_add_f64 v[22:23], v[24:25], -v[20:21]
	v_add_f64 v[26:27], v[20:21], v[24:25]
	v_add_f64 v[24:25], v[30:31], -v[28:29]
	v_add_f64 v[20:21], v[30:31], v[28:29]
	v_mad_u32_u24 v28, v36, s6, v57
	ds_write_b128 v28, v[8:11]
	ds_write_b128 v28, v[0:3] offset:80
	ds_write_b128 v28, v[16:19] offset:16
	;; [unrolled: 1-line block ×6, first 2 shown]
.LBB0_23:
	s_or_b64 exec, exec, s[4:5]
	v_mov_b32_e32 v28, 37
	v_mul_lo_u16_sdwa v28, v36, v28 dst_sel:DWORD dst_unused:UNUSED_PAD src0_sel:BYTE_0 src1_sel:DWORD
	v_sub_u16_sdwa v29, v36, v28 dst_sel:DWORD dst_unused:UNUSED_PAD src0_sel:DWORD src1_sel:BYTE_1
	v_lshrrev_b16_e32 v29, 1, v29
	v_and_b32_e32 v29, 0x7f, v29
	v_add_u16_sdwa v28, v29, v28 dst_sel:DWORD dst_unused:UNUSED_PAD src0_sel:DWORD src1_sel:BYTE_1
	v_lshrrev_b16_e32 v31, 2, v28
	v_mul_lo_u16_e32 v28, 7, v31
	v_sub_u16_e32 v53, v36, v28
	v_mov_b32_e32 v28, 6
	v_lshlrev_b32_sdwa v29, v28, v53 dst_sel:DWORD dst_unused:UNUSED_PAD src0_sel:DWORD src1_sel:BYTE_0
	s_waitcnt lgkmcnt(0)
	s_barrier
	ds_read_b128 v[16:19], v57
	ds_read_b128 v[8:11], v57 offset:3136
	ds_read_b128 v[12:15], v57 offset:6272
	;; [unrolled: 1-line block ×4, first 2 shown]
	global_load_dwordx4 v[37:40], v29, s[12:13] offset:48
	global_load_dwordx4 v[41:44], v29, s[12:13] offset:32
	;; [unrolled: 1-line block ×3, first 2 shown]
	global_load_dwordx4 v[49:52], v29, s[12:13]
	s_mov_b32 s4, 0x134454ff
	s_mov_b32 s5, 0xbfee6f0e
	s_mov_b32 s15, 0x3fee6f0e
	s_mov_b32 s14, s4
	s_mov_b32 s6, 0x4755a5e
	s_mov_b32 s7, 0xbfe2cf23
	s_mov_b32 s17, 0x3fe2cf23
	s_mov_b32 s16, s6
	s_mov_b32 s8, 0x372fe950
	s_mov_b32 s9, 0x3fd3c6ef
	s_waitcnt vmcnt(0) lgkmcnt(0)
	s_barrier
	v_mul_f64 v[29:30], v[10:11], v[51:52]
	v_fma_f64 v[29:30], v[8:9], v[49:50], v[29:30]
	v_mul_f64 v[8:9], v[8:9], v[51:52]
	v_fma_f64 v[49:50], v[10:11], v[49:50], -v[8:9]
	v_mul_f64 v[8:9], v[14:15], v[47:48]
	v_fma_f64 v[51:52], v[12:13], v[45:46], v[8:9]
	v_mul_f64 v[8:9], v[12:13], v[47:48]
	v_fma_f64 v[45:46], v[14:15], v[45:46], -v[8:9]
	v_mul_f64 v[8:9], v[22:23], v[43:44]
	v_fma_f64 v[14:15], v[20:21], v[41:42], v[8:9]
	v_mul_f64 v[8:9], v[20:21], v[43:44]
	v_add_f64 v[20:21], v[29:30], -v[51:52]
	v_add_f64 v[10:11], v[51:52], v[14:15]
	v_fma_f64 v[41:42], v[22:23], v[41:42], -v[8:9]
	v_mul_f64 v[8:9], v[26:27], v[39:40]
	v_fma_f64 v[10:11], v[10:11], -0.5, v[16:17]
	v_fma_f64 v[22:23], v[24:25], v[37:38], v[8:9]
	v_mul_f64 v[8:9], v[24:25], v[39:40]
	v_add_f64 v[39:40], v[45:46], -v[41:42]
	v_add_f64 v[24:25], v[22:23], -v[14:15]
	v_fma_f64 v[26:27], v[26:27], v[37:38], -v[8:9]
	v_add_f64 v[8:9], v[16:17], v[29:30]
	v_add_f64 v[43:44], v[14:15], -v[22:23]
	v_add_f64 v[24:25], v[20:21], v[24:25]
	v_add_f64 v[37:38], v[49:50], -v[26:27]
	v_add_f64 v[8:9], v[8:9], v[51:52]
	v_fma_f64 v[12:13], v[37:38], s[4:5], v[10:11]
	v_fma_f64 v[10:11], v[37:38], s[14:15], v[10:11]
	v_add_f64 v[8:9], v[8:9], v[14:15]
	v_fma_f64 v[12:13], v[39:40], s[6:7], v[12:13]
	v_fma_f64 v[10:11], v[39:40], s[16:17], v[10:11]
	;; [unrolled: 3-line block ×3, first 2 shown]
	v_add_f64 v[10:11], v[29:30], v[22:23]
	v_add_f64 v[24:25], v[51:52], -v[29:30]
	v_add_f64 v[29:30], v[29:30], -v[22:23]
	v_fma_f64 v[10:11], v[10:11], -0.5, v[16:17]
	v_add_f64 v[43:44], v[24:25], v[43:44]
	v_fma_f64 v[16:17], v[39:40], s[14:15], v[10:11]
	v_fma_f64 v[10:11], v[39:40], s[4:5], v[10:11]
	v_add_f64 v[39:40], v[51:52], -v[14:15]
	v_fma_f64 v[16:17], v[37:38], s[6:7], v[16:17]
	v_fma_f64 v[10:11], v[37:38], s[16:17], v[10:11]
	v_add_f64 v[37:38], v[45:46], v[41:42]
	v_fma_f64 v[24:25], v[43:44], s[8:9], v[16:17]
	v_fma_f64 v[16:17], v[43:44], s[8:9], v[10:11]
	v_fma_f64 v[37:38], v[37:38], -0.5, v[18:19]
	v_add_f64 v[43:44], v[26:27], -v[41:42]
	v_add_f64 v[10:11], v[18:19], v[49:50]
	v_fma_f64 v[22:23], v[29:30], s[14:15], v[37:38]
	v_add_f64 v[10:11], v[10:11], v[45:46]
	v_fma_f64 v[14:15], v[39:40], s[16:17], v[22:23]
	v_add_f64 v[22:23], v[49:50], -v[45:46]
	v_add_f64 v[10:11], v[10:11], v[41:42]
	v_add_f64 v[43:44], v[22:23], v[43:44]
	;; [unrolled: 1-line block ×3, first 2 shown]
	v_fma_f64 v[22:23], v[43:44], s[8:9], v[14:15]
	v_fma_f64 v[14:15], v[29:30], s[4:5], v[37:38]
	v_add_f64 v[37:38], v[49:50], v[26:27]
	v_add_f64 v[26:27], v[41:42], -v[26:27]
	v_fma_f64 v[14:15], v[39:40], s[6:7], v[14:15]
	v_fma_f64 v[18:19], v[37:38], -0.5, v[18:19]
	v_fma_f64 v[14:15], v[43:44], s[8:9], v[14:15]
	v_fma_f64 v[37:38], v[39:40], s[4:5], v[18:19]
	v_add_f64 v[43:44], v[45:46], -v[49:50]
	v_fma_f64 v[18:19], v[39:40], s[14:15], v[18:19]
	v_fma_f64 v[37:38], v[29:30], s[16:17], v[37:38]
	v_add_f64 v[41:42], v[43:44], v[26:27]
	v_fma_f64 v[18:19], v[29:30], s[6:7], v[18:19]
	v_mov_b32_e32 v30, 4
	v_mul_u32_u24_e32 v29, 0x230, v31
	v_lshlrev_b32_sdwa v30, v30, v53 dst_sel:DWORD dst_unused:UNUSED_PAD src0_sel:DWORD src1_sel:BYTE_0
	v_add3_u32 v29, 0, v29, v30
	v_fma_f64 v[26:27], v[41:42], s[8:9], v[37:38]
	v_fma_f64 v[18:19], v[41:42], s[8:9], v[18:19]
	ds_write_b128 v29, v[8:11]
	ds_write_b128 v29, v[20:23] offset:112
	ds_write_b128 v29, v[24:27] offset:224
	;; [unrolled: 1-line block ×4, first 2 shown]
	s_waitcnt lgkmcnt(0)
	s_barrier
	s_and_saveexec_b64 s[4:5], vcc
	s_cbranch_execz .LBB0_25
; %bb.24:
	ds_read_b128 v[8:11], v57
	ds_read_b128 v[20:23], v57 offset:2240
	ds_read_b128 v[24:27], v57 offset:4480
	;; [unrolled: 1-line block ×6, first 2 shown]
.LBB0_25:
	s_or_b64 exec, exec, s[4:5]
	s_movk_i32 s4, 0xeb
	v_mul_lo_u16_sdwa v29, v36, s4 dst_sel:DWORD dst_unused:UNUSED_PAD src0_sel:BYTE_0 src1_sel:DWORD
	v_lshrrev_b16_e32 v45, 13, v29
	v_mul_lo_u16_e32 v29, 35, v45
	v_sub_u16_e32 v46, v36, v29
	v_mul_u32_u24_sdwa v28, v46, v28 dst_sel:DWORD dst_unused:UNUSED_PAD src0_sel:BYTE_0 src1_sel:DWORD
	v_lshlrev_b32_e32 v55, 4, v28
	global_load_dwordx4 v[28:31], v55, s[12:13] offset:448
	global_load_dwordx4 v[37:40], v55, s[12:13] offset:464
	;; [unrolled: 1-line block ×6, first 2 shown]
	s_mov_b32 s6, 0x37e14327
	s_mov_b32 s4, 0x36b3c0b5
	;; [unrolled: 1-line block ×16, first 2 shown]
	s_waitcnt vmcnt(0) lgkmcnt(0)
	s_barrier
	v_mul_f64 v[55:56], v[22:23], v[30:31]
	v_mul_f64 v[30:31], v[20:21], v[30:31]
	v_fma_f64 v[20:21], v[20:21], v[28:29], v[55:56]
	v_fma_f64 v[22:23], v[22:23], v[28:29], -v[30:31]
	v_mul_f64 v[28:29], v[26:27], v[39:40]
	v_mul_f64 v[30:31], v[24:25], v[39:40]
	v_mul_f64 v[39:40], v[6:7], v[43:44]
	v_mul_f64 v[43:44], v[4:5], v[43:44]
	v_fma_f64 v[24:25], v[24:25], v[37:38], v[28:29]
	v_fma_f64 v[26:27], v[26:27], v[37:38], -v[30:31]
	v_mul_f64 v[28:29], v[18:19], v[49:50]
	v_mul_f64 v[30:31], v[16:17], v[49:50]
	;; [unrolled: 6-line block ×3, first 2 shown]
	v_fma_f64 v[16:17], v[16:17], v[47:48], v[28:29]
	v_fma_f64 v[18:19], v[18:19], v[47:48], -v[30:31]
	v_fma_f64 v[0:1], v[0:1], v[51:52], v[37:38]
	v_fma_f64 v[2:3], v[2:3], v[51:52], -v[49:50]
	v_add_f64 v[28:29], v[20:21], v[4:5]
	v_add_f64 v[30:31], v[22:23], v[6:7]
	v_fma_f64 v[12:13], v[12:13], v[58:59], v[39:40]
	v_fma_f64 v[14:15], v[14:15], v[58:59], -v[41:42]
	v_add_f64 v[4:5], v[20:21], -v[4:5]
	v_add_f64 v[6:7], v[22:23], -v[6:7]
	v_add_f64 v[20:21], v[24:25], v[0:1]
	v_add_f64 v[22:23], v[26:27], v[2:3]
	v_add_f64 v[0:1], v[24:25], -v[0:1]
	v_add_f64 v[2:3], v[26:27], -v[2:3]
	v_add_f64 v[24:25], v[16:17], v[12:13]
	v_add_f64 v[26:27], v[18:19], v[14:15]
	;; [unrolled: 4-line block ×3, first 2 shown]
	v_add_f64 v[37:38], v[20:21], -v[28:29]
	v_add_f64 v[39:40], v[22:23], -v[30:31]
	v_add_f64 v[28:29], v[28:29], -v[24:25]
	v_add_f64 v[30:31], v[30:31], -v[26:27]
	v_add_f64 v[20:21], v[24:25], -v[20:21]
	v_add_f64 v[22:23], v[26:27], -v[22:23]
	v_add_f64 v[41:42], v[12:13], v[0:1]
	v_add_f64 v[43:44], v[14:15], v[2:3]
	v_add_f64 v[47:48], v[12:13], -v[0:1]
	v_add_f64 v[49:50], v[14:15], -v[2:3]
	;; [unrolled: 1-line block ×4, first 2 shown]
	v_add_f64 v[16:17], v[24:25], v[16:17]
	v_add_f64 v[18:19], v[26:27], v[18:19]
	v_add_f64 v[51:52], v[4:5], -v[12:13]
	v_add_f64 v[53:54], v[6:7], -v[14:15]
	v_add_f64 v[4:5], v[41:42], v[4:5]
	v_add_f64 v[6:7], v[43:44], v[6:7]
	v_mul_f64 v[24:25], v[28:29], s[6:7]
	v_mul_f64 v[26:27], v[30:31], s[6:7]
	;; [unrolled: 1-line block ×8, first 2 shown]
	v_add_f64 v[12:13], v[8:9], v[16:17]
	v_add_f64 v[14:15], v[10:11], v[18:19]
	v_fma_f64 v[8:9], v[20:21], s[4:5], v[24:25]
	v_fma_f64 v[10:11], v[22:23], s[4:5], v[26:27]
	v_fma_f64 v[22:23], v[37:38], s[18:19], -v[28:29]
	v_fma_f64 v[28:29], v[39:40], s[18:19], -v[30:31]
	s_mov_b32 s19, 0xbfe77f67
	v_fma_f64 v[20:21], v[51:52], s[20:21], v[41:42]
	v_fma_f64 v[30:31], v[53:54], s[20:21], v[43:44]
	s_mov_b32 s21, 0x3fd5d0dc
	v_fma_f64 v[0:1], v[0:1], s[8:9], -v[41:42]
	v_fma_f64 v[2:3], v[2:3], s[8:9], -v[43:44]
	;; [unrolled: 1-line block ×6, first 2 shown]
	v_fma_f64 v[47:48], v[16:17], s[14:15], v[12:13]
	v_fma_f64 v[49:50], v[18:19], s[14:15], v[14:15]
	;; [unrolled: 1-line block ×8, first 2 shown]
	v_add_f64 v[22:23], v[22:23], v[47:48]
	v_add_f64 v[43:44], v[28:29], v[49:50]
	;; [unrolled: 1-line block ×7, first 2 shown]
	v_add_f64 v[2:3], v[43:44], -v[39:40]
	v_add_f64 v[4:5], v[26:27], -v[24:25]
	v_add_f64 v[6:7], v[30:31], v[41:42]
	v_add_f64 v[8:9], v[28:29], -v[16:17]
	v_add_f64 v[10:11], v[20:21], v[37:38]
	s_and_saveexec_b64 s[4:5], vcc
	s_cbranch_execz .LBB0_27
; %bb.26:
	v_add_f64 v[39:40], v[39:40], v[43:44]
	v_add_f64 v[30:31], v[41:42], -v[30:31]
	v_add_f64 v[43:44], v[37:38], -v[20:21]
	v_add_f64 v[41:42], v[16:17], v[28:29]
	v_add_f64 v[28:29], v[24:25], v[26:27]
	v_add_f64 v[37:38], v[22:23], -v[18:19]
	v_mov_b32_e32 v17, 4
	v_mul_u32_u24_e32 v16, 0xf50, v45
	v_lshlrev_b32_sdwa v17, v17, v46 dst_sel:DWORD dst_unused:UNUSED_PAD src0_sel:DWORD src1_sel:BYTE_0
	v_add3_u32 v16, 0, v16, v17
	ds_write_b128 v16, v[12:15]
	ds_write_b128 v16, v[41:44] offset:560
	ds_write_b128 v16, v[28:31] offset:1120
	;; [unrolled: 1-line block ×6, first 2 shown]
.LBB0_27:
	s_or_b64 exec, exec, s[4:5]
	s_waitcnt lgkmcnt(0)
	s_barrier
	ds_read_b128 v[16:19], v57
	ds_read_b128 v[28:31], v57 offset:3920
	ds_read_b128 v[24:27], v57 offset:7840
	;; [unrolled: 1-line block ×3, first 2 shown]
	v_cmp_gt_u32_e32 vcc, 49, v36
                                        ; implicit-def: $vgpr14_vgpr15
	s_and_saveexec_b64 s[4:5], vcc
	s_cbranch_execz .LBB0_29
; %bb.28:
	ds_read_b128 v[0:3], v57 offset:3136
	ds_read_b128 v[4:7], v57 offset:7056
	;; [unrolled: 1-line block ×4, first 2 shown]
.LBB0_29:
	s_or_b64 exec, exec, s[4:5]
	v_mul_u32_u24_e32 v37, 3, v36
	v_lshlrev_b32_e32 v49, 4, v37
	global_load_dwordx4 v[37:40], v49, s[12:13] offset:3808
	global_load_dwordx4 v[41:44], v49, s[12:13] offset:3824
	;; [unrolled: 1-line block ×3, first 2 shown]
	s_waitcnt vmcnt(0) lgkmcnt(0)
	s_barrier
	v_mul_f64 v[49:50], v[30:31], v[39:40]
	v_mul_f64 v[39:40], v[28:29], v[39:40]
	;; [unrolled: 1-line block ×6, first 2 shown]
	v_fma_f64 v[28:29], v[28:29], v[37:38], v[49:50]
	v_fma_f64 v[30:31], v[30:31], v[37:38], -v[39:40]
	v_fma_f64 v[24:25], v[24:25], v[41:42], v[51:52]
	v_fma_f64 v[26:27], v[26:27], v[41:42], -v[43:44]
	;; [unrolled: 2-line block ×3, first 2 shown]
	v_add_f64 v[24:25], v[16:17], -v[24:25]
	v_add_f64 v[26:27], v[18:19], -v[26:27]
	;; [unrolled: 1-line block ×4, first 2 shown]
	v_fma_f64 v[37:38], v[16:17], 2.0, -v[24:25]
	v_fma_f64 v[39:40], v[18:19], 2.0, -v[26:27]
	;; [unrolled: 1-line block ×4, first 2 shown]
	v_add_f64 v[16:17], v[24:25], v[22:23]
	v_add_f64 v[18:19], v[26:27], -v[20:21]
	v_add_f64 v[20:21], v[37:38], -v[28:29]
	;; [unrolled: 1-line block ×3, first 2 shown]
	v_fma_f64 v[24:25], v[24:25], 2.0, -v[16:17]
	v_fma_f64 v[26:27], v[26:27], 2.0, -v[18:19]
	;; [unrolled: 1-line block ×4, first 2 shown]
	ds_write_b128 v57, v[24:27] offset:3920
	ds_write_b128 v57, v[20:23] offset:7840
	ds_write_b128 v57, v[28:31]
	ds_write_b128 v57, v[16:19] offset:11760
	s_and_saveexec_b64 s[4:5], vcc
	s_cbranch_execz .LBB0_31
; %bb.30:
	v_add_u32_e32 v16, 0xc4, v36
	v_subrev_u32_e32 v17, 49, v36
	v_cndmask_b32_e32 v16, v17, v16, vcc
	v_mul_i32_i24_e32 v16, 3, v16
	v_mov_b32_e32 v17, 0
	v_lshlrev_b64 v[16:17], 4, v[16:17]
	v_mov_b32_e32 v18, s13
	v_add_co_u32_e32 v28, vcc, s12, v16
	v_addc_co_u32_e32 v29, vcc, v18, v17, vcc
	global_load_dwordx4 v[16:19], v[28:29], off offset:3824
	global_load_dwordx4 v[20:23], v[28:29], off offset:3808
	;; [unrolled: 1-line block ×3, first 2 shown]
	s_waitcnt vmcnt(2)
	v_mul_f64 v[28:29], v[8:9], v[18:19]
	s_waitcnt vmcnt(1)
	v_mul_f64 v[30:31], v[6:7], v[22:23]
	v_mul_f64 v[22:23], v[4:5], v[22:23]
	s_waitcnt vmcnt(0)
	v_mul_f64 v[37:38], v[12:13], v[26:27]
	v_mul_f64 v[18:19], v[10:11], v[18:19]
	;; [unrolled: 1-line block ×3, first 2 shown]
	v_fma_f64 v[10:11], v[10:11], v[16:17], -v[28:29]
	v_fma_f64 v[4:5], v[4:5], v[20:21], v[30:31]
	v_fma_f64 v[6:7], v[6:7], v[20:21], -v[22:23]
	v_fma_f64 v[14:15], v[14:15], v[24:25], -v[37:38]
	v_fma_f64 v[8:9], v[8:9], v[16:17], v[18:19]
	v_fma_f64 v[12:13], v[12:13], v[24:25], v[26:27]
	v_add_f64 v[10:11], v[2:3], -v[10:11]
	v_add_f64 v[14:15], v[6:7], -v[14:15]
	;; [unrolled: 1-line block ×4, first 2 shown]
	v_fma_f64 v[16:17], v[2:3], 2.0, -v[10:11]
	v_fma_f64 v[6:7], v[6:7], 2.0, -v[14:15]
	;; [unrolled: 1-line block ×4, first 2 shown]
	v_add_f64 v[2:3], v[10:11], -v[12:13]
	v_add_f64 v[0:1], v[8:9], v[14:15]
	v_add_f64 v[6:7], v[16:17], -v[6:7]
	v_add_f64 v[4:5], v[18:19], -v[4:5]
	v_fma_f64 v[10:11], v[10:11], 2.0, -v[2:3]
	v_fma_f64 v[8:9], v[8:9], 2.0, -v[0:1]
	;; [unrolled: 1-line block ×4, first 2 shown]
	ds_write_b128 v57, v[8:11] offset:7056
	ds_write_b128 v57, v[4:7] offset:10976
	;; [unrolled: 1-line block ×4, first 2 shown]
.LBB0_31:
	s_or_b64 exec, exec, s[4:5]
	s_waitcnt lgkmcnt(0)
	s_barrier
	s_and_saveexec_b64 s[4:5], s[0:1]
	s_cbranch_execz .LBB0_33
; %bb.32:
	v_mul_lo_u32 v0, s3, v34
	v_mul_lo_u32 v1, s2, v35
	v_mad_u64_u32 v[4:5], s[0:1], s2, v34, 0
	v_mov_b32_e32 v6, s11
	v_lshl_add_u32 v10, v36, 4, 0
	v_add3_u32 v5, v5, v1, v0
	v_lshlrev_b64 v[4:5], 4, v[4:5]
	v_mov_b32_e32 v37, 0
	v_add_co_u32_e32 v7, vcc, s10, v4
	v_addc_co_u32_e32 v6, vcc, v6, v5, vcc
	v_lshlrev_b64 v[4:5], 4, v[32:33]
	ds_read_b128 v[0:3], v10
	v_add_co_u32_e32 v11, vcc, v7, v4
	v_addc_co_u32_e32 v12, vcc, v6, v5, vcc
	v_lshlrev_b64 v[4:5], 4, v[36:37]
	v_add_co_u32_e32 v8, vcc, v11, v4
	v_addc_co_u32_e32 v9, vcc, v12, v5, vcc
	ds_read_b128 v[4:7], v10 offset:3136
	s_waitcnt lgkmcnt(1)
	global_store_dwordx4 v[8:9], v[0:3], off
	s_nop 0
	v_add_u32_e32 v0, 0xc4, v36
	v_mov_b32_e32 v1, v37
	v_lshlrev_b64 v[0:1], 4, v[0:1]
	v_add_co_u32_e32 v0, vcc, v11, v0
	v_addc_co_u32_e32 v1, vcc, v12, v1, vcc
	s_waitcnt lgkmcnt(0)
	global_store_dwordx4 v[0:1], v[4:7], off
	ds_read_b128 v[0:3], v10 offset:6272
	v_add_u32_e32 v4, 0x188, v36
	v_mov_b32_e32 v5, v37
	v_lshlrev_b64 v[4:5], 4, v[4:5]
	v_add_co_u32_e32 v8, vcc, v11, v4
	v_addc_co_u32_e32 v9, vcc, v12, v5, vcc
	ds_read_b128 v[4:7], v10 offset:9408
	s_waitcnt lgkmcnt(1)
	global_store_dwordx4 v[8:9], v[0:3], off
	s_nop 0
	v_add_u32_e32 v0, 0x24c, v36
	v_mov_b32_e32 v1, v37
	v_lshlrev_b64 v[0:1], 4, v[0:1]
	v_add_u32_e32 v36, 0x310, v36
	v_add_co_u32_e32 v0, vcc, v11, v0
	v_addc_co_u32_e32 v1, vcc, v12, v1, vcc
	s_waitcnt lgkmcnt(0)
	global_store_dwordx4 v[0:1], v[4:7], off
	ds_read_b128 v[0:3], v10 offset:12544
	v_lshlrev_b64 v[4:5], 4, v[36:37]
	v_add_co_u32_e32 v4, vcc, v11, v4
	v_addc_co_u32_e32 v5, vcc, v12, v5, vcc
	s_waitcnt lgkmcnt(0)
	global_store_dwordx4 v[4:5], v[0:3], off
.LBB0_33:
	s_endpgm
	.section	.rodata,"a",@progbits
	.p2align	6, 0x0
	.amdhsa_kernel fft_rtc_back_len980_factors_7_5_7_4_wgs_196_tpt_196_dp_op_CI_CI_unitstride_sbrr_C2R_dirReg
		.amdhsa_group_segment_fixed_size 0
		.amdhsa_private_segment_fixed_size 0
		.amdhsa_kernarg_size 104
		.amdhsa_user_sgpr_count 6
		.amdhsa_user_sgpr_private_segment_buffer 1
		.amdhsa_user_sgpr_dispatch_ptr 0
		.amdhsa_user_sgpr_queue_ptr 0
		.amdhsa_user_sgpr_kernarg_segment_ptr 1
		.amdhsa_user_sgpr_dispatch_id 0
		.amdhsa_user_sgpr_flat_scratch_init 0
		.amdhsa_user_sgpr_private_segment_size 0
		.amdhsa_uses_dynamic_stack 0
		.amdhsa_system_sgpr_private_segment_wavefront_offset 0
		.amdhsa_system_sgpr_workgroup_id_x 1
		.amdhsa_system_sgpr_workgroup_id_y 0
		.amdhsa_system_sgpr_workgroup_id_z 0
		.amdhsa_system_sgpr_workgroup_info 0
		.amdhsa_system_vgpr_workitem_id 0
		.amdhsa_next_free_vgpr 62
		.amdhsa_next_free_sgpr 28
		.amdhsa_reserve_vcc 1
		.amdhsa_reserve_flat_scratch 0
		.amdhsa_float_round_mode_32 0
		.amdhsa_float_round_mode_16_64 0
		.amdhsa_float_denorm_mode_32 3
		.amdhsa_float_denorm_mode_16_64 3
		.amdhsa_dx10_clamp 1
		.amdhsa_ieee_mode 1
		.amdhsa_fp16_overflow 0
		.amdhsa_exception_fp_ieee_invalid_op 0
		.amdhsa_exception_fp_denorm_src 0
		.amdhsa_exception_fp_ieee_div_zero 0
		.amdhsa_exception_fp_ieee_overflow 0
		.amdhsa_exception_fp_ieee_underflow 0
		.amdhsa_exception_fp_ieee_inexact 0
		.amdhsa_exception_int_div_zero 0
	.end_amdhsa_kernel
	.text
.Lfunc_end0:
	.size	fft_rtc_back_len980_factors_7_5_7_4_wgs_196_tpt_196_dp_op_CI_CI_unitstride_sbrr_C2R_dirReg, .Lfunc_end0-fft_rtc_back_len980_factors_7_5_7_4_wgs_196_tpt_196_dp_op_CI_CI_unitstride_sbrr_C2R_dirReg
                                        ; -- End function
	.section	.AMDGPU.csdata,"",@progbits
; Kernel info:
; codeLenInByte = 6332
; NumSgprs: 32
; NumVgprs: 62
; ScratchSize: 0
; MemoryBound: 0
; FloatMode: 240
; IeeeMode: 1
; LDSByteSize: 0 bytes/workgroup (compile time only)
; SGPRBlocks: 3
; VGPRBlocks: 15
; NumSGPRsForWavesPerEU: 32
; NumVGPRsForWavesPerEU: 62
; Occupancy: 4
; WaveLimiterHint : 1
; COMPUTE_PGM_RSRC2:SCRATCH_EN: 0
; COMPUTE_PGM_RSRC2:USER_SGPR: 6
; COMPUTE_PGM_RSRC2:TRAP_HANDLER: 0
; COMPUTE_PGM_RSRC2:TGID_X_EN: 1
; COMPUTE_PGM_RSRC2:TGID_Y_EN: 0
; COMPUTE_PGM_RSRC2:TGID_Z_EN: 0
; COMPUTE_PGM_RSRC2:TIDIG_COMP_CNT: 0
	.type	__hip_cuid_bea936295740d4f,@object ; @__hip_cuid_bea936295740d4f
	.section	.bss,"aw",@nobits
	.globl	__hip_cuid_bea936295740d4f
__hip_cuid_bea936295740d4f:
	.byte	0                               ; 0x0
	.size	__hip_cuid_bea936295740d4f, 1

	.ident	"AMD clang version 19.0.0git (https://github.com/RadeonOpenCompute/llvm-project roc-6.4.0 25133 c7fe45cf4b819c5991fe208aaa96edf142730f1d)"
	.section	".note.GNU-stack","",@progbits
	.addrsig
	.addrsig_sym __hip_cuid_bea936295740d4f
	.amdgpu_metadata
---
amdhsa.kernels:
  - .args:
      - .actual_access:  read_only
        .address_space:  global
        .offset:         0
        .size:           8
        .value_kind:     global_buffer
      - .offset:         8
        .size:           8
        .value_kind:     by_value
      - .actual_access:  read_only
        .address_space:  global
        .offset:         16
        .size:           8
        .value_kind:     global_buffer
      - .actual_access:  read_only
        .address_space:  global
        .offset:         24
        .size:           8
        .value_kind:     global_buffer
      - .actual_access:  read_only
        .address_space:  global
        .offset:         32
        .size:           8
        .value_kind:     global_buffer
      - .offset:         40
        .size:           8
        .value_kind:     by_value
      - .actual_access:  read_only
        .address_space:  global
        .offset:         48
        .size:           8
        .value_kind:     global_buffer
      - .actual_access:  read_only
        .address_space:  global
        .offset:         56
        .size:           8
        .value_kind:     global_buffer
      - .offset:         64
        .size:           4
        .value_kind:     by_value
      - .actual_access:  read_only
        .address_space:  global
        .offset:         72
        .size:           8
        .value_kind:     global_buffer
      - .actual_access:  read_only
        .address_space:  global
        .offset:         80
        .size:           8
        .value_kind:     global_buffer
      - .actual_access:  read_only
        .address_space:  global
        .offset:         88
        .size:           8
        .value_kind:     global_buffer
      - .actual_access:  write_only
        .address_space:  global
        .offset:         96
        .size:           8
        .value_kind:     global_buffer
    .group_segment_fixed_size: 0
    .kernarg_segment_align: 8
    .kernarg_segment_size: 104
    .language:       OpenCL C
    .language_version:
      - 2
      - 0
    .max_flat_workgroup_size: 196
    .name:           fft_rtc_back_len980_factors_7_5_7_4_wgs_196_tpt_196_dp_op_CI_CI_unitstride_sbrr_C2R_dirReg
    .private_segment_fixed_size: 0
    .sgpr_count:     32
    .sgpr_spill_count: 0
    .symbol:         fft_rtc_back_len980_factors_7_5_7_4_wgs_196_tpt_196_dp_op_CI_CI_unitstride_sbrr_C2R_dirReg.kd
    .uniform_work_group_size: 1
    .uses_dynamic_stack: false
    .vgpr_count:     62
    .vgpr_spill_count: 0
    .wavefront_size: 64
amdhsa.target:   amdgcn-amd-amdhsa--gfx906
amdhsa.version:
  - 1
  - 2
...

	.end_amdgpu_metadata
